;; amdgpu-corpus repo=ROCm/rocFFT kind=compiled arch=gfx1201 opt=O3
	.text
	.amdgcn_target "amdgcn-amd-amdhsa--gfx1201"
	.amdhsa_code_object_version 6
	.protected	fft_rtc_fwd_len504_factors_7_9_4_2_wgs_63_tpt_63_half_op_CI_CI_unitstride_sbrr_dirReg ; -- Begin function fft_rtc_fwd_len504_factors_7_9_4_2_wgs_63_tpt_63_half_op_CI_CI_unitstride_sbrr_dirReg
	.globl	fft_rtc_fwd_len504_factors_7_9_4_2_wgs_63_tpt_63_half_op_CI_CI_unitstride_sbrr_dirReg
	.p2align	8
	.type	fft_rtc_fwd_len504_factors_7_9_4_2_wgs_63_tpt_63_half_op_CI_CI_unitstride_sbrr_dirReg,@function
fft_rtc_fwd_len504_factors_7_9_4_2_wgs_63_tpt_63_half_op_CI_CI_unitstride_sbrr_dirReg: ; @fft_rtc_fwd_len504_factors_7_9_4_2_wgs_63_tpt_63_half_op_CI_CI_unitstride_sbrr_dirReg
; %bb.0:
	s_clause 0x2
	s_load_b128 s[8:11], s[0:1], 0x0
	s_load_b128 s[4:7], s[0:1], 0x58
	;; [unrolled: 1-line block ×3, first 2 shown]
	v_mul_u32_u24_e32 v1, 0x411, v0
	v_mov_b32_e32 v8, 0
	v_mov_b32_e32 v9, 0
	s_delay_alu instid0(VALU_DEP_3) | instskip(NEXT) | instid1(VALU_DEP_1)
	v_lshrrev_b32_e32 v1, 16, v1
	v_dual_mov_b32 v5, 0 :: v_dual_add_nc_u32 v10, ttmp9, v1
	s_delay_alu instid0(VALU_DEP_1) | instskip(SKIP_2) | instid1(VALU_DEP_1)
	v_mov_b32_e32 v11, v5
	s_wait_kmcnt 0x0
	v_cmp_lt_u64_e64 s2, s[10:11], 2
	s_and_b32 vcc_lo, exec_lo, s2
	s_cbranch_vccnz .LBB0_8
; %bb.1:
	s_load_b64 s[2:3], s[0:1], 0x10
	v_mov_b32_e32 v8, 0
	v_mov_b32_e32 v9, 0
	s_delay_alu instid0(VALU_DEP_2)
	v_mov_b32_e32 v1, v8
	s_add_nc_u64 s[16:17], s[14:15], 8
	s_add_nc_u64 s[18:19], s[12:13], 8
	s_mov_b64 s[20:21], 1
	v_mov_b32_e32 v2, v9
	s_wait_kmcnt 0x0
	s_add_nc_u64 s[22:23], s[2:3], 8
	s_mov_b32 s3, 0
.LBB0_2:                                ; =>This Inner Loop Header: Depth=1
	s_load_b64 s[24:25], s[22:23], 0x0
                                        ; implicit-def: $vgpr3_vgpr4
	s_mov_b32 s2, exec_lo
	s_wait_kmcnt 0x0
	v_or_b32_e32 v6, s25, v11
	s_delay_alu instid0(VALU_DEP_1)
	v_cmpx_ne_u64_e32 0, v[5:6]
	s_wait_alu 0xfffe
	s_xor_b32 s26, exec_lo, s2
	s_cbranch_execz .LBB0_4
; %bb.3:                                ;   in Loop: Header=BB0_2 Depth=1
	s_cvt_f32_u32 s2, s24
	s_cvt_f32_u32 s27, s25
	s_sub_nc_u64 s[30:31], 0, s[24:25]
	s_wait_alu 0xfffe
	s_delay_alu instid0(SALU_CYCLE_1) | instskip(SKIP_1) | instid1(SALU_CYCLE_2)
	s_fmamk_f32 s2, s27, 0x4f800000, s2
	s_wait_alu 0xfffe
	v_s_rcp_f32 s2, s2
	s_delay_alu instid0(TRANS32_DEP_1) | instskip(SKIP_1) | instid1(SALU_CYCLE_2)
	s_mul_f32 s2, s2, 0x5f7ffffc
	s_wait_alu 0xfffe
	s_mul_f32 s27, s2, 0x2f800000
	s_wait_alu 0xfffe
	s_delay_alu instid0(SALU_CYCLE_2) | instskip(SKIP_1) | instid1(SALU_CYCLE_2)
	s_trunc_f32 s27, s27
	s_wait_alu 0xfffe
	s_fmamk_f32 s2, s27, 0xcf800000, s2
	s_cvt_u32_f32 s29, s27
	s_wait_alu 0xfffe
	s_delay_alu instid0(SALU_CYCLE_1) | instskip(SKIP_1) | instid1(SALU_CYCLE_2)
	s_cvt_u32_f32 s28, s2
	s_wait_alu 0xfffe
	s_mul_u64 s[34:35], s[30:31], s[28:29]
	s_wait_alu 0xfffe
	s_mul_hi_u32 s37, s28, s35
	s_mul_i32 s36, s28, s35
	s_mul_hi_u32 s2, s28, s34
	s_mul_i32 s33, s29, s34
	s_wait_alu 0xfffe
	s_add_nc_u64 s[36:37], s[2:3], s[36:37]
	s_mul_hi_u32 s27, s29, s34
	s_mul_hi_u32 s38, s29, s35
	s_add_co_u32 s2, s36, s33
	s_wait_alu 0xfffe
	s_add_co_ci_u32 s2, s37, s27
	s_mul_i32 s34, s29, s35
	s_add_co_ci_u32 s35, s38, 0
	s_wait_alu 0xfffe
	s_add_nc_u64 s[34:35], s[2:3], s[34:35]
	s_wait_alu 0xfffe
	v_add_co_u32 v3, s2, s28, s34
	s_delay_alu instid0(VALU_DEP_1) | instskip(SKIP_1) | instid1(VALU_DEP_1)
	s_cmp_lg_u32 s2, 0
	s_add_co_ci_u32 s29, s29, s35
	v_readfirstlane_b32 s28, v3
	s_wait_alu 0xfffe
	s_delay_alu instid0(VALU_DEP_1)
	s_mul_u64 s[30:31], s[30:31], s[28:29]
	s_wait_alu 0xfffe
	s_mul_hi_u32 s35, s28, s31
	s_mul_i32 s34, s28, s31
	s_mul_hi_u32 s2, s28, s30
	s_mul_i32 s33, s29, s30
	s_wait_alu 0xfffe
	s_add_nc_u64 s[34:35], s[2:3], s[34:35]
	s_mul_hi_u32 s27, s29, s30
	s_mul_hi_u32 s28, s29, s31
	s_wait_alu 0xfffe
	s_add_co_u32 s2, s34, s33
	s_add_co_ci_u32 s2, s35, s27
	s_mul_i32 s30, s29, s31
	s_add_co_ci_u32 s31, s28, 0
	s_wait_alu 0xfffe
	s_add_nc_u64 s[30:31], s[2:3], s[30:31]
	s_wait_alu 0xfffe
	v_add_co_u32 v6, s2, v3, s30
	s_delay_alu instid0(VALU_DEP_1) | instskip(SKIP_1) | instid1(VALU_DEP_1)
	s_cmp_lg_u32 s2, 0
	s_add_co_ci_u32 s2, s29, s31
	v_mul_hi_u32 v14, v10, v6
	s_wait_alu 0xfffe
	v_mad_co_u64_u32 v[3:4], null, v10, s2, 0
	v_mad_co_u64_u32 v[6:7], null, v11, v6, 0
	;; [unrolled: 1-line block ×3, first 2 shown]
	s_delay_alu instid0(VALU_DEP_3) | instskip(SKIP_1) | instid1(VALU_DEP_4)
	v_add_co_u32 v3, vcc_lo, v14, v3
	s_wait_alu 0xfffd
	v_add_co_ci_u32_e32 v4, vcc_lo, 0, v4, vcc_lo
	s_delay_alu instid0(VALU_DEP_2) | instskip(SKIP_1) | instid1(VALU_DEP_2)
	v_add_co_u32 v3, vcc_lo, v3, v6
	s_wait_alu 0xfffd
	v_add_co_ci_u32_e32 v3, vcc_lo, v4, v7, vcc_lo
	s_wait_alu 0xfffd
	v_add_co_ci_u32_e32 v4, vcc_lo, 0, v13, vcc_lo
	s_delay_alu instid0(VALU_DEP_2) | instskip(SKIP_1) | instid1(VALU_DEP_2)
	v_add_co_u32 v6, vcc_lo, v3, v12
	s_wait_alu 0xfffd
	v_add_co_ci_u32_e32 v7, vcc_lo, 0, v4, vcc_lo
	s_delay_alu instid0(VALU_DEP_2) | instskip(SKIP_1) | instid1(VALU_DEP_3)
	v_mul_lo_u32 v12, s25, v6
	v_mad_co_u64_u32 v[3:4], null, s24, v6, 0
	v_mul_lo_u32 v13, s24, v7
	s_delay_alu instid0(VALU_DEP_2) | instskip(NEXT) | instid1(VALU_DEP_2)
	v_sub_co_u32 v3, vcc_lo, v10, v3
	v_add3_u32 v4, v4, v13, v12
	s_delay_alu instid0(VALU_DEP_1) | instskip(SKIP_1) | instid1(VALU_DEP_1)
	v_sub_nc_u32_e32 v12, v11, v4
	s_wait_alu 0xfffd
	v_subrev_co_ci_u32_e64 v12, s2, s25, v12, vcc_lo
	v_add_co_u32 v13, s2, v6, 2
	s_wait_alu 0xf1ff
	v_add_co_ci_u32_e64 v14, s2, 0, v7, s2
	v_sub_co_u32 v15, s2, v3, s24
	v_sub_co_ci_u32_e32 v4, vcc_lo, v11, v4, vcc_lo
	s_wait_alu 0xf1ff
	v_subrev_co_ci_u32_e64 v12, s2, 0, v12, s2
	s_delay_alu instid0(VALU_DEP_3) | instskip(NEXT) | instid1(VALU_DEP_3)
	v_cmp_le_u32_e32 vcc_lo, s24, v15
	v_cmp_eq_u32_e64 s2, s25, v4
	s_wait_alu 0xfffd
	v_cndmask_b32_e64 v15, 0, -1, vcc_lo
	v_cmp_le_u32_e32 vcc_lo, s25, v12
	s_wait_alu 0xfffd
	v_cndmask_b32_e64 v16, 0, -1, vcc_lo
	v_cmp_le_u32_e32 vcc_lo, s24, v3
	;; [unrolled: 3-line block ×3, first 2 shown]
	s_wait_alu 0xfffd
	v_cndmask_b32_e64 v17, 0, -1, vcc_lo
	v_cmp_eq_u32_e32 vcc_lo, s25, v12
	s_wait_alu 0xf1ff
	s_delay_alu instid0(VALU_DEP_2)
	v_cndmask_b32_e64 v3, v17, v3, s2
	s_wait_alu 0xfffd
	v_cndmask_b32_e32 v12, v16, v15, vcc_lo
	v_add_co_u32 v15, vcc_lo, v6, 1
	s_wait_alu 0xfffd
	v_add_co_ci_u32_e32 v16, vcc_lo, 0, v7, vcc_lo
	s_delay_alu instid0(VALU_DEP_3) | instskip(SKIP_2) | instid1(VALU_DEP_3)
	v_cmp_ne_u32_e32 vcc_lo, 0, v12
	s_wait_alu 0xfffd
	v_cndmask_b32_e32 v12, v15, v13, vcc_lo
	v_cndmask_b32_e32 v4, v16, v14, vcc_lo
	v_cmp_ne_u32_e32 vcc_lo, 0, v3
	s_wait_alu 0xfffd
	s_delay_alu instid0(VALU_DEP_3) | instskip(NEXT) | instid1(VALU_DEP_3)
	v_cndmask_b32_e32 v3, v6, v12, vcc_lo
	v_cndmask_b32_e32 v4, v7, v4, vcc_lo
.LBB0_4:                                ;   in Loop: Header=BB0_2 Depth=1
	s_wait_alu 0xfffe
	s_and_not1_saveexec_b32 s2, s26
	s_cbranch_execz .LBB0_6
; %bb.5:                                ;   in Loop: Header=BB0_2 Depth=1
	v_cvt_f32_u32_e32 v3, s24
	s_sub_co_i32 s26, 0, s24
	s_delay_alu instid0(VALU_DEP_1) | instskip(NEXT) | instid1(TRANS32_DEP_1)
	v_rcp_iflag_f32_e32 v3, v3
	v_mul_f32_e32 v3, 0x4f7ffffe, v3
	s_delay_alu instid0(VALU_DEP_1) | instskip(SKIP_1) | instid1(VALU_DEP_1)
	v_cvt_u32_f32_e32 v3, v3
	s_wait_alu 0xfffe
	v_mul_lo_u32 v4, s26, v3
	s_delay_alu instid0(VALU_DEP_1) | instskip(NEXT) | instid1(VALU_DEP_1)
	v_mul_hi_u32 v4, v3, v4
	v_add_nc_u32_e32 v3, v3, v4
	s_delay_alu instid0(VALU_DEP_1) | instskip(NEXT) | instid1(VALU_DEP_1)
	v_mul_hi_u32 v3, v10, v3
	v_mul_lo_u32 v4, v3, s24
	v_add_nc_u32_e32 v6, 1, v3
	s_delay_alu instid0(VALU_DEP_2) | instskip(NEXT) | instid1(VALU_DEP_1)
	v_sub_nc_u32_e32 v4, v10, v4
	v_subrev_nc_u32_e32 v7, s24, v4
	v_cmp_le_u32_e32 vcc_lo, s24, v4
	s_wait_alu 0xfffd
	s_delay_alu instid0(VALU_DEP_2) | instskip(NEXT) | instid1(VALU_DEP_1)
	v_dual_cndmask_b32 v4, v4, v7 :: v_dual_cndmask_b32 v3, v3, v6
	v_cmp_le_u32_e32 vcc_lo, s24, v4
	s_delay_alu instid0(VALU_DEP_2) | instskip(SKIP_1) | instid1(VALU_DEP_1)
	v_add_nc_u32_e32 v6, 1, v3
	s_wait_alu 0xfffd
	v_dual_mov_b32 v4, v5 :: v_dual_cndmask_b32 v3, v3, v6
.LBB0_6:                                ;   in Loop: Header=BB0_2 Depth=1
	s_wait_alu 0xfffe
	s_or_b32 exec_lo, exec_lo, s2
	s_delay_alu instid0(VALU_DEP_1) | instskip(NEXT) | instid1(VALU_DEP_2)
	v_mul_lo_u32 v12, v4, s24
	v_mul_lo_u32 v13, v3, s25
	s_load_b64 s[26:27], s[18:19], 0x0
	v_mad_co_u64_u32 v[6:7], null, v3, s24, 0
	s_load_b64 s[24:25], s[16:17], 0x0
	s_add_nc_u64 s[20:21], s[20:21], 1
	s_add_nc_u64 s[16:17], s[16:17], 8
	s_wait_alu 0xfffe
	v_cmp_ge_u64_e64 s2, s[20:21], s[10:11]
	s_add_nc_u64 s[18:19], s[18:19], 8
	s_add_nc_u64 s[22:23], s[22:23], 8
	v_add3_u32 v7, v7, v13, v12
	v_sub_co_u32 v6, vcc_lo, v10, v6
	s_wait_alu 0xfffd
	s_delay_alu instid0(VALU_DEP_2) | instskip(SKIP_2) | instid1(VALU_DEP_1)
	v_sub_co_ci_u32_e32 v7, vcc_lo, v11, v7, vcc_lo
	s_and_b32 vcc_lo, exec_lo, s2
	s_wait_kmcnt 0x0
	v_mul_lo_u32 v10, s26, v7
	v_mul_lo_u32 v11, s27, v6
	v_mad_co_u64_u32 v[8:9], null, s26, v6, v[8:9]
	v_mul_lo_u32 v7, s24, v7
	v_mul_lo_u32 v12, s25, v6
	v_mad_co_u64_u32 v[1:2], null, s24, v6, v[1:2]
	s_delay_alu instid0(VALU_DEP_4) | instskip(NEXT) | instid1(VALU_DEP_2)
	v_add3_u32 v9, v11, v9, v10
	v_add3_u32 v2, v12, v2, v7
	s_wait_alu 0xfffe
	s_cbranch_vccnz .LBB0_9
; %bb.7:                                ;   in Loop: Header=BB0_2 Depth=1
	v_dual_mov_b32 v11, v4 :: v_dual_mov_b32 v10, v3
	s_branch .LBB0_2
.LBB0_8:
	v_dual_mov_b32 v1, v8 :: v_dual_mov_b32 v2, v9
	v_dual_mov_b32 v3, v10 :: v_dual_mov_b32 v4, v11
.LBB0_9:
	s_load_b64 s[0:1], s[0:1], 0x28
	v_mul_hi_u32 v6, 0x4104105, v0
	s_lshl_b64 s[10:11], s[10:11], 3
                                        ; implicit-def: $vgpr5
                                        ; implicit-def: $vgpr7
	s_wait_kmcnt 0x0
	v_cmp_gt_u64_e32 vcc_lo, s[0:1], v[3:4]
	v_cmp_le_u64_e64 s0, s[0:1], v[3:4]
	s_delay_alu instid0(VALU_DEP_1)
	s_and_saveexec_b32 s1, s0
	s_wait_alu 0xfffe
	s_xor_b32 s0, exec_lo, s1
; %bb.10:
	v_mul_u32_u24_e32 v5, 63, v6
                                        ; implicit-def: $vgpr6
                                        ; implicit-def: $vgpr8_vgpr9
	s_delay_alu instid0(VALU_DEP_1) | instskip(NEXT) | instid1(VALU_DEP_1)
	v_sub_nc_u32_e32 v5, v0, v5
                                        ; implicit-def: $vgpr0
	v_add_nc_u32_e32 v7, 63, v5
; %bb.11:
	s_wait_alu 0xfffe
	s_or_saveexec_b32 s1, s0
	s_add_nc_u64 s[2:3], s[14:15], s[10:11]
	s_wait_alu 0xfffe
	s_xor_b32 exec_lo, exec_lo, s1
	s_cbranch_execz .LBB0_13
; %bb.12:
	s_add_nc_u64 s[10:11], s[12:13], s[10:11]
	v_lshlrev_b64_e32 v[8:9], 2, v[8:9]
	s_load_b64 s[10:11], s[10:11], 0x0
	s_wait_kmcnt 0x0
	v_mul_lo_u32 v5, s11, v3
	v_mul_lo_u32 v7, s10, v4
	v_mad_co_u64_u32 v[10:11], null, s10, v3, 0
	s_delay_alu instid0(VALU_DEP_1) | instskip(SKIP_1) | instid1(VALU_DEP_2)
	v_add3_u32 v11, v11, v7, v5
	v_mul_u32_u24_e32 v5, 63, v6
	v_lshlrev_b64_e32 v[6:7], 2, v[10:11]
	s_delay_alu instid0(VALU_DEP_2) | instskip(NEXT) | instid1(VALU_DEP_1)
	v_sub_nc_u32_e32 v5, v0, v5
	v_lshlrev_b32_e32 v10, 2, v5
	s_delay_alu instid0(VALU_DEP_3) | instskip(SKIP_1) | instid1(VALU_DEP_4)
	v_add_co_u32 v0, s0, s4, v6
	s_wait_alu 0xf1ff
	v_add_co_ci_u32_e64 v6, s0, s5, v7, s0
	s_delay_alu instid0(VALU_DEP_2) | instskip(SKIP_1) | instid1(VALU_DEP_2)
	v_add_co_u32 v0, s0, v0, v8
	s_wait_alu 0xf1ff
	v_add_co_ci_u32_e64 v7, s0, v6, v9, s0
	s_delay_alu instid0(VALU_DEP_2) | instskip(SKIP_1) | instid1(VALU_DEP_2)
	v_add_co_u32 v6, s0, v0, v10
	s_wait_alu 0xf1ff
	v_add_co_ci_u32_e64 v7, s0, 0, v7, s0
	s_clause 0x7
	global_load_b32 v0, v[6:7], off
	global_load_b32 v8, v[6:7], off offset:252
	global_load_b32 v9, v[6:7], off offset:504
	;; [unrolled: 1-line block ×7, first 2 shown]
	v_add_nc_u32_e32 v10, 0, v10
	v_add_nc_u32_e32 v7, 63, v5
	s_delay_alu instid0(VALU_DEP_2)
	v_add_nc_u32_e32 v15, 0x200, v10
	v_add_nc_u32_e32 v16, 0x400, v10
	s_wait_loadcnt 0x6
	ds_store_2addr_b32 v10, v0, v8 offset1:63
	s_wait_loadcnt 0x4
	ds_store_2addr_b32 v10, v9, v11 offset0:126 offset1:189
	s_wait_loadcnt 0x2
	ds_store_2addr_b32 v15, v12, v13 offset0:124 offset1:187
	;; [unrolled: 2-line block ×3, first 2 shown]
.LBB0_13:
	s_or_b32 exec_lo, exec_lo, s1
	v_lshl_add_u32 v0, v5, 2, 0
	s_load_b64 s[2:3], s[2:3], 0x0
	global_wb scope:SCOPE_SE
	s_wait_dscnt 0x0
	s_wait_kmcnt 0x0
	s_barrier_signal -1
	s_barrier_wait -1
	v_add_nc_u32_e32 v6, 0x200, v0
	v_add_nc_u32_e32 v14, 0x400, v0
	global_inv scope:SCOPE_SE
	ds_load_2addr_b32 v[8:9], v0 offset0:72 offset1:135
	ds_load_2addr_b32 v[10:11], v0 offset0:144 offset1:207
	;; [unrolled: 1-line block ×6, first 2 shown]
	ds_load_2addr_b32 v[31:32], v0 offset1:63
	s_mov_b32 s1, exec_lo
	global_wb scope:SCOPE_SE
	s_wait_dscnt 0x0
	s_barrier_signal -1
	s_barrier_wait -1
	global_inv scope:SCOPE_SE
	v_pk_add_f16 v15, v9, v17
	v_pk_add_f16 v20, v11, v24
	;; [unrolled: 1-line block ×3, first 2 shown]
	v_pk_add_f16 v19, v9, v17 neg_lo:[0,1] neg_hi:[0,1]
	v_pk_add_f16 v21, v11, v24 neg_lo:[0,1] neg_hi:[0,1]
	;; [unrolled: 1-line block ×3, first 2 shown]
	v_pk_add_f16 v6, v8, v16
	v_pk_add_f16 v13, v8, v16 neg_lo:[0,1] neg_hi:[0,1]
	v_pk_add_f16 v8, v20, v15
	v_bfi_b32 v11, 0xffff, v22, v15
	v_bfi_b32 v16, 0xffff, v20, v22
	;; [unrolled: 1-line block ×4, first 2 shown]
	v_alignbit_b32 v26, v19, v9, 16
	v_alignbit_b32 v28, v9, v21, 16
	v_pk_add_f16 v25, v9, v21
	v_alignbit_b32 v30, v9, v19, 16
	v_alignbit_b32 v9, v21, v9, 16
	v_pk_add_f16 v8, v22, v8
	v_pk_add_f16 v16, v11, v16 neg_lo:[0,1] neg_hi:[0,1]
	v_pk_add_f16 v27, v17, v24 neg_lo:[0,1] neg_hi:[0,1]
	;; [unrolled: 1-line block ×3, first 2 shown]
	v_pk_add_f16 v14, v10, v23
	v_pk_add_f16 v28, v30, v9 neg_lo:[0,1] neg_hi:[0,1]
	v_pk_add_f16 v9, v25, v19
	v_pk_add_f16 v11, v32, v8
	v_pk_mul_f16 v25, 0x3a522b26, v16
	v_pk_mul_f16 v26, 0x3574b846, v17
	v_pk_add_f16 v18, v12, v29
	v_pk_add_f16 v16, v14, v6
	v_pk_mul_f16 v22, 0x370e, v9 op_sel_hi:[0,1]
	v_pk_fma_f16 v24, 0x3cab, v8, v11 op_sel_hi:[0,1,1] neg_lo:[0,1,0] neg_hi:[0,1,0]
	v_pk_fma_f16 v8, 0x2b263a52, v27, v25
	v_pk_fma_f16 v9, 0xb8463574, v28, v26
	v_pk_add_f16 v10, v10, v23 neg_lo:[0,1] neg_hi:[0,1]
	v_pk_add_f16 v17, v29, v12 neg_lo:[0,1] neg_hi:[0,1]
	v_pk_add_f16 v16, v18, v16
	v_pk_add_f16 v12, v8, v24
	v_pk_add_f16 v9, v22, v9 op_sel:[1,0] op_sel_hi:[0,1]
	v_pk_add_f16 v29, v6, v18 neg_lo:[0,1] neg_hi:[0,1]
	v_pk_add_f16 v30, v10, v13 neg_lo:[0,1] neg_hi:[0,1]
	;; [unrolled: 1-line block ×3, first 2 shown]
	v_pk_add_f16 v8, v31, v16
	v_pk_add_f16 v6, v12, v9
	v_pk_add_f16 v12, v12, v9 neg_lo:[0,1] neg_hi:[0,1]
	v_pk_mul_f16 v9, 0x3a52, v29 op_sel_hi:[0,1]
	v_pk_add_f16 v29, v17, v10
	v_pk_add_f16 v31, v13, v17 neg_lo:[0,1] neg_hi:[0,1]
	v_pk_mul_f16 v30, 0x3b00, v30 op_sel_hi:[0,1]
	v_pk_mul_f16 v23, 0x39e0, v23 op_sel_hi:[0,1]
	v_pk_add_f16 v14, v18, v14 neg_lo:[0,1] neg_hi:[0,1]
	v_pk_add_f16 v13, v29, v13
	v_pk_add_f16 v10, v17, v10 neg_lo:[0,1] neg_hi:[0,1]
	v_pk_fma_f16 v29, 0x3574, v31, v30 op_sel_hi:[0,1,1] neg_lo:[0,1,1] neg_hi:[0,1,1]
	v_pk_mul_f16 v17, 0x3574, v31 op_sel_hi:[0,1]
	v_pk_fma_f16 v32, 0x3cab, v16, v8 op_sel_hi:[0,1,1] neg_lo:[0,1,0] neg_hi:[0,1,0]
	v_pk_add_f16 v16, v9, v23 op_sel:[1,1] op_sel_hi:[0,0] neg_lo:[1,1] neg_hi:[1,1]
	v_pk_fma_f16 v23, 0x2b26, v14, v23 op_sel_hi:[0,1,1] neg_lo:[0,1,0] neg_hi:[0,1,0]
	v_pk_fma_f16 v18, 0x370e, v13, v29 op_sel_hi:[0,1,1]
	v_pk_fma_f16 v29, 0xb846, v10, v30 op_sel_hi:[0,1,1] neg_lo:[0,1,0] neg_hi:[0,1,0]
	v_pk_fma_f16 v9, 0x2b26, v14, v9 op_sel_hi:[0,1,1]
	v_pk_fma_f16 v10, 0xb846, v10, v17 op_sel_hi:[0,1,1]
	v_pk_add_f16 v33, v16, v32 op_sel:[0,1] op_sel_hi:[1,0]
	v_pk_add_f16 v14, v23, v32
	v_pk_fma_f16 v23, 0x370e, v13, v29 op_sel_hi:[0,1,1]
	v_pk_add_f16 v29, v9, v32
	v_pk_fma_f16 v10, 0x370e, v13, v10 op_sel_hi:[0,1,1]
	v_pk_add_f16 v16, v33, v18
	v_pk_add_f16 v17, v33, v18 neg_lo:[0,1] neg_hi:[0,1]
	v_perm_b32 v30, v33, v14, 0x7060302
	v_bfi_b32 v18, 0xffff, v23, v18
	v_pk_add_f16 v9, v29, v10 op_sel:[0,1] op_sel_hi:[1,0]
	v_pk_add_f16 v10, v29, v10 op_sel:[0,1] op_sel_hi:[1,0] neg_lo:[0,1] neg_hi:[0,1]
	v_pk_add_f16 v13, v14, v23 op_sel:[0,1] op_sel_hi:[1,0] neg_lo:[0,1] neg_hi:[0,1]
	v_pk_add_f16 v14, v14, v23 op_sel:[0,1] op_sel_hi:[1,0]
	v_pk_add_f16 v18, v30, v18 neg_lo:[0,1] neg_hi:[0,1]
	v_mad_u32_u24 v23, v5, 24, v0
	v_bfi_b32 v31, 0xffff, v9, v10
	v_alignbit_b32 v29, v17, v16, 16
	v_bfi_b32 v30, 0xffff, v13, v14
	v_alignbit_b32 v32, v16, v18, 16
	v_pack_b32_f16 v33, v14, v18
	v_bfi_b32 v34, 0xffff, v10, v9
	ds_store_2addr_b32 v23, v8, v31 offset1:1
	ds_store_2addr_b32 v23, v29, v30 offset0:2 offset1:3
	ds_store_2addr_b32 v23, v33, v32 offset0:4 offset1:5
	ds_store_b32 v23, v34 offset:24
	v_cmpx_gt_u32_e32 9, v5
	s_cbranch_execz .LBB0_15
; %bb.14:
	v_pk_mul_f16 v27, 0x2b263a52, v27
	v_pk_mul_f16 v28, 0xb8463574, v28
	v_pk_add_f16 v15, v20, v15 neg_lo:[0,1] neg_hi:[0,1]
	v_pk_add_f16 v19, v21, v19 neg_lo:[0,1] neg_hi:[0,1]
	s_delay_alu instid0(VALU_DEP_4) | instskip(NEXT) | instid1(VALU_DEP_4)
	v_bfi_b32 v20, 0xffff, v27, v25
	v_alignbit_b32 v21, v28, v26, 16
	v_alignbit_b32 v26, v26, v28, 16
	v_bfi_b32 v25, 0xffff, v25, v27
	s_delay_alu instid0(VALU_DEP_4) | instskip(NEXT) | instid1(VALU_DEP_4)
	v_pk_fma_f16 v20, 0x39e0, v15, v20 op_sel_hi:[0,1,1] neg_lo:[0,1,1] neg_hi:[0,1,1]
	v_pk_fma_f16 v21, 0x3b00, v19, v21 op_sel_hi:[0,1,1] neg_lo:[0,1,1] neg_hi:[0,1,1]
	s_delay_alu instid0(VALU_DEP_4) | instskip(NEXT) | instid1(VALU_DEP_4)
	v_pk_fma_f16 v19, 0x3b00, v19, v26 op_sel_hi:[0,1,1] neg_lo:[0,0,1] neg_hi:[0,0,1]
	v_pk_fma_f16 v15, 0x39e0, v15, v25 op_sel_hi:[0,1,1] neg_lo:[0,0,1] neg_hi:[0,0,1]
	s_delay_alu instid0(VALU_DEP_4) | instskip(NEXT) | instid1(VALU_DEP_4)
	v_pk_add_f16 v20, v20, v24
	v_pk_add_f16 v21, v22, v21
	s_delay_alu instid0(VALU_DEP_4) | instskip(NEXT) | instid1(VALU_DEP_4)
	v_pk_add_f16 v19, v22, v19
	v_pk_add_f16 v15, v15, v24
	v_mad_i32_i24 v24, v7, 28, 0
	s_delay_alu instid0(VALU_DEP_4) | instskip(SKIP_1) | instid1(VALU_DEP_4)
	v_pk_add_f16 v22, v20, v21 op_sel:[0,1] op_sel_hi:[1,0]
	v_pk_add_f16 v20, v20, v21 op_sel:[0,1] op_sel_hi:[1,0] neg_lo:[0,1] neg_hi:[0,1]
	v_pk_add_f16 v21, v15, v19 op_sel:[0,1] op_sel_hi:[1,0] neg_lo:[0,1] neg_hi:[0,1]
	v_pk_add_f16 v15, v15, v19 op_sel:[0,1] op_sel_hi:[1,0]
	v_bfi_b32 v19, 0xffff, v6, v12
	s_delay_alu instid0(VALU_DEP_4) | instskip(SKIP_1) | instid1(VALU_DEP_4)
	v_bfi_b32 v25, 0xffff, v22, v20
	v_bfi_b32 v20, 0xffff, v20, v22
	;; [unrolled: 1-line block ×5, first 2 shown]
	ds_store_2addr_b32 v24, v11, v19 offset1:1
	ds_store_2addr_b32 v24, v25, v26 offset0:2 offset1:3
	ds_store_2addr_b32 v24, v15, v20 offset0:4 offset1:5
	ds_store_b32 v24, v21 offset:24
.LBB0_15:
	s_wait_alu 0xfffe
	s_or_b32 exec_lo, exec_lo, s1
	v_lshrrev_b32_e32 v19, 16, v10
	v_cmp_gt_u32_e64 s0, 56, v5
	v_lshrrev_b32_e32 v20, 16, v12
	v_lshrrev_b32_e32 v12, 16, v16
	;; [unrolled: 1-line block ×5, first 2 shown]
	global_wb scope:SCOPE_SE
	s_wait_dscnt 0x0
	s_barrier_signal -1
	s_barrier_wait -1
	global_inv scope:SCOPE_SE
	s_and_saveexec_b32 s1, s0
	s_cbranch_execz .LBB0_17
; %bb.16:
	v_mad_i32_i24 v6, 0xffffffe8, v5, v23
	v_add_nc_u32_e32 v10, 0x200, v0
	v_add_nc_u32_e32 v11, 0x400, v0
	ds_load_2addr_b32 v[8:9], v0 offset1:56
	ds_load_2addr_b32 v[12:13], v0 offset0:112 offset1:168
	ds_load_b32 v6, v6 offset:1792
	ds_load_2addr_b32 v[14:15], v10 offset0:96 offset1:152
	ds_load_2addr_b32 v[10:11], v11 offset0:80 offset1:136
	s_wait_dscnt 0x3
	v_lshrrev_b32_e32 v17, 16, v12
	v_lshrrev_b32_e32 v21, 16, v13
	;; [unrolled: 1-line block ×3, first 2 shown]
	s_wait_dscnt 0x2
	v_lshrrev_b32_e32 v20, 16, v6
	s_wait_dscnt 0x1
	v_lshrrev_b32_e32 v18, 16, v14
	v_lshrrev_b32_e32 v16, 16, v15
	s_wait_dscnt 0x0
	v_lshrrev_b32_e32 v22, 16, v10
.LBB0_17:
	s_wait_alu 0xfffe
	s_or_b32 exec_lo, exec_lo, s1
	global_wb scope:SCOPE_SE
	s_barrier_signal -1
	s_barrier_wait -1
	global_inv scope:SCOPE_SE
	s_and_saveexec_b32 s1, s0
	s_cbranch_execz .LBB0_19
; %bb.18:
	v_and_b32_e32 v23, 0xff, v5
	v_lshrrev_b32_e32 v33, 16, v11
	v_lshrrev_b32_e32 v34, 16, v8
	s_delay_alu instid0(VALU_DEP_3) | instskip(NEXT) | instid1(VALU_DEP_1)
	v_mul_lo_u16 v23, v23, 37
	v_lshrrev_b16 v23, 8, v23
	s_delay_alu instid0(VALU_DEP_1) | instskip(NEXT) | instid1(VALU_DEP_1)
	v_sub_nc_u16 v24, v5, v23
	v_lshrrev_b16 v24, 1, v24
	s_delay_alu instid0(VALU_DEP_1) | instskip(NEXT) | instid1(VALU_DEP_1)
	v_and_b32_e32 v24, 0x7f, v24
	v_add_nc_u16 v23, v24, v23
	s_delay_alu instid0(VALU_DEP_1) | instskip(NEXT) | instid1(VALU_DEP_1)
	v_lshrrev_b16 v31, 2, v23
	v_mul_lo_u16 v23, v31, 7
	v_and_b32_e32 v31, 0xffff, v31
	s_delay_alu instid0(VALU_DEP_2) | instskip(NEXT) | instid1(VALU_DEP_2)
	v_sub_nc_u16 v23, v5, v23
	v_mul_u32_u24_e32 v31, 0xfc, v31
	s_delay_alu instid0(VALU_DEP_2) | instskip(NEXT) | instid1(VALU_DEP_1)
	v_and_b32_e32 v32, 0xff, v23
	v_lshlrev_b32_e32 v27, 5, v32
	v_lshlrev_b32_e32 v32, 2, v32
	s_clause 0x1
	global_load_b128 v[23:26], v27, s[8:9]
	global_load_b128 v[27:30], v27, s[8:9] offset:16
	v_add3_u32 v31, 0, v31, v32
	s_wait_loadcnt 0x1
	v_lshrrev_b32_e32 v32, 16, v23
	v_lshrrev_b32_e32 v35, 16, v24
	;; [unrolled: 1-line block ×4, first 2 shown]
	s_wait_loadcnt 0x0
	v_lshrrev_b32_e32 v38, 16, v30
	v_lshrrev_b32_e32 v39, 16, v27
	;; [unrolled: 1-line block ×4, first 2 shown]
	v_mul_f16_e32 v42, v9, v32
	v_mul_f16_e32 v43, v6, v38
	;; [unrolled: 1-line block ×16, first 2 shown]
	v_fmac_f16_e32 v42, v19, v23
	v_fmac_f16_e32 v43, v20, v30
	;; [unrolled: 1-line block ×4, first 2 shown]
	v_fma_f16 v15, v15, v27, -v39
	v_fma_f16 v14, v14, v26, -v37
	;; [unrolled: 1-line block ×8, first 2 shown]
	v_fmac_f16_e32 v44, v21, v25
	v_fmac_f16_e32 v45, v22, v28
	v_add_f16_e32 v21, v12, v11
	v_add_f16_e32 v22, v13, v10
	;; [unrolled: 1-line block ×3, first 2 shown]
	v_sub_f16_e32 v6, v9, v6
	v_sub_f16_e32 v9, v13, v10
	;; [unrolled: 1-line block ×4, first 2 shown]
	v_add_f16_e32 v13, v46, v47
	v_add_f16_e32 v25, v42, v43
	;; [unrolled: 1-line block ×4, first 2 shown]
	v_mul_f16_e32 v28, 0x3be1, v11
	v_fmac_f16_e32 v48, v18, v26
	v_add_f16_e32 v30, v13, v25
	v_fmac_f16_e32 v49, v16, v27
	v_sub_f16_e32 v16, v42, v43
	v_sub_f16_e32 v17, v44, v45
	v_mul_f16_e32 v41, 0xb924, v11
	v_mul_f16_e32 v43, 0x3924, v6
	v_fma_f16 v28, v10, 0xb924, -v28
	v_add_f16_e32 v44, v24, v30
	v_add_f16_e32 v45, v22, v32
	;; [unrolled: 1-line block ×3, first 2 shown]
	v_fmac_f16_e32 v41, 0x3be1, v6
	v_fmac_f16_e32 v43, 0x3be1, v10
	;; [unrolled: 1-line block ×3, first 2 shown]
	v_add_f16_e32 v44, v48, v44
	v_add_f16_e32 v14, v14, v45
	v_sub_f16_e32 v19, v48, v49
	v_add_f16_e32 v12, v48, v49
	v_add_f16_e32 v37, v11, v6
	v_fmac_f16_e32 v41, 0xbaee, v9
	v_fmac_f16_e32 v43, 0x3aee, v9
	;; [unrolled: 1-line block ×3, first 2 shown]
	v_add_f16_e32 v6, v49, v44
	v_add_f16_e32 v9, v15, v14
	v_sub_f16_e32 v18, v46, v47
	v_mul_f16_e32 v26, 0x3be1, v19
	v_fmamk_f16 v27, v21, 0x3a21, v8
	v_fmamk_f16 v29, v13, 0x3a21, v34
	v_mul_f16_e32 v38, 0xb924, v19
	v_fmamk_f16 v39, v20, 0x3a21, v8
	v_fmamk_f16 v40, v12, 0x3a21, v34
	v_add_f16_e32 v35, v8, v22
	v_add_f16_e32 v36, v34, v24
	v_mul_f16_e32 v42, 0x3924, v16
	v_add_f16_e32 v6, v34, v6
	v_add_f16_e32 v9, v8, v9
	v_fmac_f16_e32 v8, 0x3a21, v23
	v_fmac_f16_e32 v34, 0x3a21, v25
	v_fma_f16 v26, v18, 0xb924, -v26
	v_fmac_f16_e32 v27, 0x318f, v20
	v_fmac_f16_e32 v29, 0x318f, v12
	;; [unrolled: 1-line block ×9, first 2 shown]
	v_fmac_f16_e32 v27, -0.5, v22
	v_fmac_f16_e32 v29, -0.5, v24
	v_add_f16_e32 v33, v19, v16
	v_add_f16_e32 v32, v20, v32
	;; [unrolled: 1-line block ×3, first 2 shown]
	v_fmac_f16_e32 v38, 0xbaee, v17
	v_fmac_f16_e32 v39, -0.5, v22
	v_fmac_f16_e32 v40, -0.5, v24
	v_fmac_f16_e32 v42, 0x3aee, v17
	v_fmac_f16_e32 v8, -0.5, v22
	v_fmac_f16_e32 v34, -0.5, v24
	v_fmac_f16_e32 v26, 0x3579, v16
	v_fmac_f16_e32 v27, 0xbb84, v23
	;; [unrolled: 1-line block ×3, first 2 shown]
	v_sub_f16_e32 v33, v33, v18
	v_sub_f16_e32 v37, v37, v10
	v_fmac_f16_e32 v35, -0.5, v32
	v_fmac_f16_e32 v36, -0.5, v30
	v_fmac_f16_e32 v38, 0x3579, v18
	v_fmac_f16_e32 v39, 0xbb84, v21
	;; [unrolled: 1-line block ×8, first 2 shown]
	v_add_f16_e32 v10, v26, v27
	v_sub_f16_e32 v11, v29, v28
	v_mul_f16_e32 v45, 0x3aee, v33
	v_mul_f16_e32 v30, 0x3aee, v37
	v_fmac_f16_e32 v35, 0x3aee, v33
	v_fmac_f16_e32 v36, 0xbaee, v37
	v_add_f16_e32 v15, v38, v39
	v_sub_f16_e32 v16, v40, v41
	v_add_f16_e32 v8, v42, v8
	v_sub_f16_e32 v19, v34, v43
	v_fma_f16 v12, -2.0, v26, v10
	v_fma_f16 v17, 2.0, v28, v11
	v_fma_f16 v13, -2.0, v45, v35
	v_fma_f16 v14, 2.0, v30, v36
	;; [unrolled: 2-line block ×3, first 2 shown]
	v_pack_b32_f16 v6, v9, v6
	v_pack_b32_f16 v9, v15, v16
	v_fma_f16 v15, -2.0, v42, v8
	v_fma_f16 v16, 2.0, v43, v19
	v_pack_b32_f16 v8, v8, v19
	v_pack_b32_f16 v19, v35, v36
	;; [unrolled: 1-line block ×7, first 2 shown]
	ds_store_2addr_b32 v31, v6, v8 offset1:7
	ds_store_2addr_b32 v31, v9, v19 offset0:14 offset1:21
	ds_store_2addr_b32 v31, v10, v11 offset0:28 offset1:35
	;; [unrolled: 1-line block ×3, first 2 shown]
	ds_store_b32 v31, v14 offset:224
.LBB0_19:
	s_wait_alu 0xfffe
	s_or_b32 exec_lo, exec_lo, s1
	v_mul_u32_u24_e32 v6, 3, v5
	global_wb scope:SCOPE_SE
	s_wait_dscnt 0x0
	s_barrier_signal -1
	s_barrier_wait -1
	global_inv scope:SCOPE_SE
	v_lshlrev_b32_e32 v6, 2, v6
	v_add_nc_u32_e32 v20, 0x400, v0
	ds_load_2addr_b32 v[12:13], v0 offset1:126
	ds_load_2addr_b32 v[14:15], v0 offset0:189 offset1:252
	v_lshl_add_u32 v21, v7, 2, 0
	global_load_b96 v[9:11], v6, s[8:9] offset:224
	ds_load_2addr_b32 v[16:17], v20 offset0:59 offset1:122
	ds_load_b32 v23, v21
	ds_load_u16 v24, v0 offset:1766
	ds_load_b32 v25, v0 offset:1764
	v_mov_b32_e32 v6, 0
	v_add_nc_u32_e32 v22, 0x200, v0
	global_wb scope:SCOPE_SE
	s_wait_loadcnt_dscnt 0x0
	s_barrier_signal -1
	s_barrier_wait -1
	v_mov_b32_e32 v8, v6
	v_lshlrev_b64_e32 v[18:19], 2, v[5:6]
	global_inv scope:SCOPE_SE
	v_lshlrev_b64_e32 v[7:8], 2, v[7:8]
	v_lshrrev_b32_e32 v26, 16, v13
	v_lshrrev_b32_e32 v27, 16, v15
	;; [unrolled: 1-line block ×7, first 2 shown]
	v_add_co_u32 v18, s0, s8, v18
	s_wait_alu 0xf1ff
	v_add_co_ci_u32_e64 v19, s0, s9, v19, s0
	v_add_co_u32 v7, s0, s8, v7
	s_wait_alu 0xf1ff
	v_add_co_ci_u32_e64 v8, s0, s9, v8, s0
	v_lshrrev_b32_e32 v31, 16, v9
	v_lshrrev_b32_e32 v33, 16, v10
	v_lshrrev_b32_e32 v35, 16, v11
	s_delay_alu instid0(VALU_DEP_3) | instskip(SKIP_1) | instid1(VALU_DEP_4)
	v_mul_f16_e32 v36, v31, v26
	v_mul_f16_e32 v37, v31, v13
	;; [unrolled: 1-line block ×12, first 2 shown]
	v_fma_f16 v13, v9, v13, -v36
	v_fmac_f16_e32 v37, v9, v26
	v_fma_f16 v15, v10, v15, -v38
	v_fmac_f16_e32 v39, v10, v27
	;; [unrolled: 2-line block ×6, first 2 shown]
	v_sub_f16_e32 v11, v12, v15
	v_sub_f16_e32 v15, v29, v39
	;; [unrolled: 1-line block ×8, first 2 shown]
	v_fma_f16 v12, v12, 2.0, -v11
	v_fma_f16 v26, v29, 2.0, -v15
	;; [unrolled: 1-line block ×8, first 2 shown]
	v_sub_f16_e32 v17, v11, v17
	v_add_f16_e32 v16, v15, v16
	v_sub_f16_e32 v13, v12, v13
	v_sub_f16_e32 v27, v26, v27
	;; [unrolled: 1-line block ×3, first 2 shown]
	v_add_f16_e32 v10, v24, v10
	v_sub_f16_e32 v14, v23, v14
	v_sub_f16_e32 v29, v28, v29
	v_fma_f16 v11, v11, 2.0, -v17
	v_fma_f16 v15, v15, 2.0, -v16
	v_pack_b32_f16 v16, v17, v16
	v_fma_f16 v12, v12, 2.0, -v13
	v_fma_f16 v17, v26, 2.0, -v27
	v_fma_f16 v9, v9, 2.0, -v25
	v_fma_f16 v24, v24, 2.0, -v10
	v_pack_b32_f16 v10, v25, v10
	v_fma_f16 v23, v23, 2.0, -v14
	v_fma_f16 v25, v28, 2.0, -v29
	v_pack_b32_f16 v13, v13, v27
	v_pack_b32_f16 v14, v14, v29
	v_pack_b32_f16 v11, v11, v15
	v_pack_b32_f16 v12, v12, v17
	v_pack_b32_f16 v9, v9, v24
	v_pack_b32_f16 v15, v23, v25
	ds_store_2addr_b32 v0, v13, v16 offset0:126 offset1:189
	ds_store_2addr_b32 v20, v14, v10 offset0:122 offset1:185
	ds_store_2addr_b32 v0, v12, v11 offset1:63
	ds_store_2addr_b32 v22, v15, v9 offset0:124 offset1:187
	global_wb scope:SCOPE_SE
	s_wait_dscnt 0x0
	s_barrier_signal -1
	s_barrier_wait -1
	global_inv scope:SCOPE_SE
	s_clause 0x3
	global_load_b32 v13, v[18:19], off offset:980
	global_load_b32 v14, v[18:19], off offset:1484
	;; [unrolled: 1-line block ×4, first 2 shown]
	ds_load_2addr_b32 v[7:8], v0 offset0:189 offset1:252
	ds_load_2addr_b32 v[9:10], v20 offset0:59 offset1:122
	ds_load_b32 v17, v0 offset:1764
	ds_load_2addr_b32 v[11:12], v0 offset1:126
	ds_load_b32 v19, v21
	global_wb scope:SCOPE_SE
	s_wait_loadcnt_dscnt 0x0
	s_barrier_signal -1
	s_barrier_wait -1
	global_inv scope:SCOPE_SE
	v_pk_mul_f16 v18, v13, v8 op_sel:[0,1]
	v_pk_mul_f16 v22, v14, v10 op_sel:[0,1]
	;; [unrolled: 1-line block ×4, first 2 shown]
	s_delay_alu instid0(VALU_DEP_4) | instskip(SKIP_2) | instid1(VALU_DEP_4)
	v_pk_fma_f16 v25, v13, v8, v18 op_sel:[0,0,1] op_sel_hi:[1,1,0] neg_lo:[0,0,1] neg_hi:[0,0,1]
	v_pk_fma_f16 v8, v13, v8, v18 op_sel:[0,0,1] op_sel_hi:[1,0,0]
	v_pk_fma_f16 v13, v14, v10, v22 op_sel:[0,0,1] op_sel_hi:[1,1,0] neg_lo:[0,0,1] neg_hi:[0,0,1]
	v_pk_fma_f16 v18, v16, v9, v24 op_sel:[0,0,1] op_sel_hi:[1,1,0] neg_lo:[0,0,1] neg_hi:[0,0,1]
	v_pk_fma_f16 v9, v16, v9, v24 op_sel:[0,0,1] op_sel_hi:[1,0,0]
	v_pk_fma_f16 v10, v14, v10, v22 op_sel:[0,0,1] op_sel_hi:[1,0,0]
	v_pk_fma_f16 v14, v15, v17, v23 op_sel:[0,0,1] op_sel_hi:[1,1,0] neg_lo:[0,0,1] neg_hi:[0,0,1]
	v_pk_fma_f16 v15, v15, v17, v23 op_sel:[0,0,1] op_sel_hi:[1,0,0]
	v_bfi_b32 v8, 0xffff, v25, v8
	v_bfi_b32 v9, 0xffff, v18, v9
	;; [unrolled: 1-line block ×3, first 2 shown]
	s_delay_alu instid0(VALU_DEP_4) | instskip(NEXT) | instid1(VALU_DEP_4)
	v_bfi_b32 v13, 0xffff, v14, v15
	v_pk_add_f16 v8, v11, v8 neg_lo:[0,1] neg_hi:[0,1]
	s_delay_alu instid0(VALU_DEP_4) | instskip(NEXT) | instid1(VALU_DEP_4)
	v_pk_add_f16 v9, v19, v9 neg_lo:[0,1] neg_hi:[0,1]
	v_pk_add_f16 v10, v12, v10 neg_lo:[0,1] neg_hi:[0,1]
	s_delay_alu instid0(VALU_DEP_4) | instskip(NEXT) | instid1(VALU_DEP_4)
	v_pk_add_f16 v13, v7, v13 neg_lo:[0,1] neg_hi:[0,1]
	v_pk_fma_f16 v11, v11, 2.0, v8 op_sel_hi:[1,0,1] neg_lo:[0,0,1] neg_hi:[0,0,1]
	s_delay_alu instid0(VALU_DEP_4) | instskip(NEXT) | instid1(VALU_DEP_4)
	v_pk_fma_f16 v14, v19, 2.0, v9 op_sel_hi:[1,0,1] neg_lo:[0,0,1] neg_hi:[0,0,1]
	v_pk_fma_f16 v12, v12, 2.0, v10 op_sel_hi:[1,0,1] neg_lo:[0,0,1] neg_hi:[0,0,1]
	s_delay_alu instid0(VALU_DEP_4)
	v_pk_fma_f16 v7, v7, 2.0, v13 op_sel_hi:[1,0,1] neg_lo:[0,0,1] neg_hi:[0,0,1]
	ds_store_b32 v0, v11
	ds_store_b32 v0, v8 offset:1008
	ds_store_2addr_b32 v21, v14, v9 offset1:252
	ds_store_2addr_b32 v0, v12, v7 offset0:126 offset1:189
	ds_store_2addr_b32 v20, v10, v13 offset0:122 offset1:185
	global_wb scope:SCOPE_SE
	s_wait_dscnt 0x0
	s_barrier_signal -1
	s_barrier_wait -1
	global_inv scope:SCOPE_SE
	s_and_saveexec_b32 s0, vcc_lo
	s_cbranch_execz .LBB0_21
; %bb.20:
	v_mul_lo_u32 v0, s3, v3
	v_mul_lo_u32 v7, s2, v4
	v_mad_co_u64_u32 v[3:4], null, s2, v3, 0
	v_dual_mov_b32 v12, v6 :: v_dual_add_nc_u32 v11, 0x7e, v5
	v_lshl_add_u32 v23, v5, 2, 0
	v_dual_mov_b32 v18, v6 :: v_dual_add_nc_u32 v15, 0xfc, v5
	v_dual_mov_b32 v22, v6 :: v_dual_add_nc_u32 v17, 0x13b, v5
	v_add3_u32 v4, v4, v7, v0
	v_lshlrev_b64_e32 v[0:1], 2, v[1:2]
	v_add_nc_u32_e32 v2, 63, v5
	v_lshlrev_b64_e32 v[7:8], 2, v[5:6]
	ds_load_2addr_b32 v[13:14], v23 offset1:63
	v_lshlrev_b64_e32 v[9:10], 2, v[3:4]
	v_mov_b32_e32 v3, v6
	v_add_nc_u32_e32 v21, 0x17a, v5
	v_lshlrev_b64_e32 v[17:18], 2, v[17:18]
	v_mov_b32_e32 v16, v6
	v_add_co_u32 v4, vcc_lo, s6, v9
	s_wait_alu 0xfffd
	v_add_co_ci_u32_e32 v9, vcc_lo, s7, v10, vcc_lo
	v_lshlrev_b64_e32 v[2:3], 2, v[2:3]
	s_delay_alu instid0(VALU_DEP_3) | instskip(SKIP_1) | instid1(VALU_DEP_3)
	v_add_co_u32 v25, vcc_lo, v4, v0
	s_wait_alu 0xfffd
	v_add_co_ci_u32_e32 v26, vcc_lo, v9, v1, vcc_lo
	v_lshlrev_b64_e32 v[0:1], 2, v[11:12]
	v_add_nc_u32_e32 v11, 0xbd, v5
	v_add_nc_u32_e32 v4, 0x200, v23
	v_add_co_u32 v7, vcc_lo, v25, v7
	s_wait_alu 0xfffd
	v_add_co_ci_u32_e32 v8, vcc_lo, v26, v8, vcc_lo
	v_add_co_u32 v2, vcc_lo, v25, v2
	v_lshlrev_b64_e32 v[11:12], 2, v[11:12]
	ds_load_2addr_b32 v[19:20], v4 offset0:124 offset1:187
	v_add_nc_u32_e32 v4, 0x400, v23
	s_wait_alu 0xfffd
	v_add_co_ci_u32_e32 v3, vcc_lo, v26, v3, vcc_lo
	ds_load_2addr_b32 v[9:10], v23 offset0:126 offset1:189
	v_add_co_u32 v0, vcc_lo, v25, v0
	v_lshlrev_b64_e32 v[15:16], 2, v[15:16]
	s_wait_alu 0xfffd
	v_add_co_ci_u32_e32 v1, vcc_lo, v26, v1, vcc_lo
	v_add_co_u32 v11, vcc_lo, v25, v11
	ds_load_2addr_b32 v[23:24], v4 offset0:122 offset1:185
	v_add_nc_u32_e32 v5, 0x1b9, v5
	s_wait_alu 0xfffd
	v_add_co_ci_u32_e32 v12, vcc_lo, v26, v12, vcc_lo
	v_add_co_u32 v15, vcc_lo, v25, v15
	v_lshlrev_b64_e32 v[21:22], 2, v[21:22]
	s_wait_alu 0xfffd
	v_add_co_ci_u32_e32 v16, vcc_lo, v26, v16, vcc_lo
	v_add_co_u32 v17, vcc_lo, v25, v17
	v_lshlrev_b64_e32 v[4:5], 2, v[5:6]
	s_wait_alu 0xfffd
	v_add_co_ci_u32_e32 v18, vcc_lo, v26, v18, vcc_lo
	v_add_co_u32 v21, vcc_lo, v25, v21
	s_wait_alu 0xfffd
	v_add_co_ci_u32_e32 v22, vcc_lo, v26, v22, vcc_lo
	v_add_co_u32 v4, vcc_lo, v25, v4
	s_wait_alu 0xfffd
	v_add_co_ci_u32_e32 v5, vcc_lo, v26, v5, vcc_lo
	s_wait_dscnt 0x3
	s_clause 0x1
	global_store_b32 v[7:8], v13, off
	global_store_b32 v[2:3], v14, off
	s_wait_dscnt 0x1
	s_clause 0x3
	global_store_b32 v[0:1], v9, off
	global_store_b32 v[11:12], v10, off
	;; [unrolled: 1-line block ×4, first 2 shown]
	s_wait_dscnt 0x0
	s_clause 0x1
	global_store_b32 v[21:22], v23, off
	global_store_b32 v[4:5], v24, off
.LBB0_21:
	s_nop 0
	s_sendmsg sendmsg(MSG_DEALLOC_VGPRS)
	s_endpgm
	.section	.rodata,"a",@progbits
	.p2align	6, 0x0
	.amdhsa_kernel fft_rtc_fwd_len504_factors_7_9_4_2_wgs_63_tpt_63_half_op_CI_CI_unitstride_sbrr_dirReg
		.amdhsa_group_segment_fixed_size 0
		.amdhsa_private_segment_fixed_size 0
		.amdhsa_kernarg_size 104
		.amdhsa_user_sgpr_count 2
		.amdhsa_user_sgpr_dispatch_ptr 0
		.amdhsa_user_sgpr_queue_ptr 0
		.amdhsa_user_sgpr_kernarg_segment_ptr 1
		.amdhsa_user_sgpr_dispatch_id 0
		.amdhsa_user_sgpr_private_segment_size 0
		.amdhsa_wavefront_size32 1
		.amdhsa_uses_dynamic_stack 0
		.amdhsa_enable_private_segment 0
		.amdhsa_system_sgpr_workgroup_id_x 1
		.amdhsa_system_sgpr_workgroup_id_y 0
		.amdhsa_system_sgpr_workgroup_id_z 0
		.amdhsa_system_sgpr_workgroup_info 0
		.amdhsa_system_vgpr_workitem_id 0
		.amdhsa_next_free_vgpr 50
		.amdhsa_next_free_sgpr 39
		.amdhsa_reserve_vcc 1
		.amdhsa_float_round_mode_32 0
		.amdhsa_float_round_mode_16_64 0
		.amdhsa_float_denorm_mode_32 3
		.amdhsa_float_denorm_mode_16_64 3
		.amdhsa_fp16_overflow 0
		.amdhsa_workgroup_processor_mode 1
		.amdhsa_memory_ordered 1
		.amdhsa_forward_progress 0
		.amdhsa_round_robin_scheduling 0
		.amdhsa_exception_fp_ieee_invalid_op 0
		.amdhsa_exception_fp_denorm_src 0
		.amdhsa_exception_fp_ieee_div_zero 0
		.amdhsa_exception_fp_ieee_overflow 0
		.amdhsa_exception_fp_ieee_underflow 0
		.amdhsa_exception_fp_ieee_inexact 0
		.amdhsa_exception_int_div_zero 0
	.end_amdhsa_kernel
	.text
.Lfunc_end0:
	.size	fft_rtc_fwd_len504_factors_7_9_4_2_wgs_63_tpt_63_half_op_CI_CI_unitstride_sbrr_dirReg, .Lfunc_end0-fft_rtc_fwd_len504_factors_7_9_4_2_wgs_63_tpt_63_half_op_CI_CI_unitstride_sbrr_dirReg
                                        ; -- End function
	.section	.AMDGPU.csdata,"",@progbits
; Kernel info:
; codeLenInByte = 5996
; NumSgprs: 41
; NumVgprs: 50
; ScratchSize: 0
; MemoryBound: 0
; FloatMode: 240
; IeeeMode: 1
; LDSByteSize: 0 bytes/workgroup (compile time only)
; SGPRBlocks: 5
; VGPRBlocks: 6
; NumSGPRsForWavesPerEU: 41
; NumVGPRsForWavesPerEU: 50
; Occupancy: 16
; WaveLimiterHint : 1
; COMPUTE_PGM_RSRC2:SCRATCH_EN: 0
; COMPUTE_PGM_RSRC2:USER_SGPR: 2
; COMPUTE_PGM_RSRC2:TRAP_HANDLER: 0
; COMPUTE_PGM_RSRC2:TGID_X_EN: 1
; COMPUTE_PGM_RSRC2:TGID_Y_EN: 0
; COMPUTE_PGM_RSRC2:TGID_Z_EN: 0
; COMPUTE_PGM_RSRC2:TIDIG_COMP_CNT: 0
	.text
	.p2alignl 7, 3214868480
	.fill 96, 4, 3214868480
	.type	__hip_cuid_fa64f6570a881a4,@object ; @__hip_cuid_fa64f6570a881a4
	.section	.bss,"aw",@nobits
	.globl	__hip_cuid_fa64f6570a881a4
__hip_cuid_fa64f6570a881a4:
	.byte	0                               ; 0x0
	.size	__hip_cuid_fa64f6570a881a4, 1

	.ident	"AMD clang version 19.0.0git (https://github.com/RadeonOpenCompute/llvm-project roc-6.4.0 25133 c7fe45cf4b819c5991fe208aaa96edf142730f1d)"
	.section	".note.GNU-stack","",@progbits
	.addrsig
	.addrsig_sym __hip_cuid_fa64f6570a881a4
	.amdgpu_metadata
---
amdhsa.kernels:
  - .args:
      - .actual_access:  read_only
        .address_space:  global
        .offset:         0
        .size:           8
        .value_kind:     global_buffer
      - .offset:         8
        .size:           8
        .value_kind:     by_value
      - .actual_access:  read_only
        .address_space:  global
        .offset:         16
        .size:           8
        .value_kind:     global_buffer
      - .actual_access:  read_only
        .address_space:  global
        .offset:         24
        .size:           8
        .value_kind:     global_buffer
      - .actual_access:  read_only
        .address_space:  global
        .offset:         32
        .size:           8
        .value_kind:     global_buffer
      - .offset:         40
        .size:           8
        .value_kind:     by_value
      - .actual_access:  read_only
        .address_space:  global
        .offset:         48
        .size:           8
        .value_kind:     global_buffer
      - .actual_access:  read_only
        .address_space:  global
        .offset:         56
        .size:           8
        .value_kind:     global_buffer
      - .offset:         64
        .size:           4
        .value_kind:     by_value
      - .actual_access:  read_only
        .address_space:  global
        .offset:         72
        .size:           8
        .value_kind:     global_buffer
      - .actual_access:  read_only
        .address_space:  global
        .offset:         80
        .size:           8
        .value_kind:     global_buffer
      - .actual_access:  read_only
        .address_space:  global
        .offset:         88
        .size:           8
        .value_kind:     global_buffer
      - .actual_access:  write_only
        .address_space:  global
        .offset:         96
        .size:           8
        .value_kind:     global_buffer
    .group_segment_fixed_size: 0
    .kernarg_segment_align: 8
    .kernarg_segment_size: 104
    .language:       OpenCL C
    .language_version:
      - 2
      - 0
    .max_flat_workgroup_size: 63
    .name:           fft_rtc_fwd_len504_factors_7_9_4_2_wgs_63_tpt_63_half_op_CI_CI_unitstride_sbrr_dirReg
    .private_segment_fixed_size: 0
    .sgpr_count:     41
    .sgpr_spill_count: 0
    .symbol:         fft_rtc_fwd_len504_factors_7_9_4_2_wgs_63_tpt_63_half_op_CI_CI_unitstride_sbrr_dirReg.kd
    .uniform_work_group_size: 1
    .uses_dynamic_stack: false
    .vgpr_count:     50
    .vgpr_spill_count: 0
    .wavefront_size: 32
    .workgroup_processor_mode: 1
amdhsa.target:   amdgcn-amd-amdhsa--gfx1201
amdhsa.version:
  - 1
  - 2
...

	.end_amdgpu_metadata
